;; amdgpu-corpus repo=ROCm/rocFFT kind=compiled arch=gfx1030 opt=O3
	.text
	.amdgcn_target "amdgcn-amd-amdhsa--gfx1030"
	.amdhsa_code_object_version 6
	.protected	bluestein_single_fwd_len112_dim1_dp_op_CI_CI ; -- Begin function bluestein_single_fwd_len112_dim1_dp_op_CI_CI
	.globl	bluestein_single_fwd_len112_dim1_dp_op_CI_CI
	.p2align	8
	.type	bluestein_single_fwd_len112_dim1_dp_op_CI_CI,@function
bluestein_single_fwd_len112_dim1_dp_op_CI_CI: ; @bluestein_single_fwd_len112_dim1_dp_op_CI_CI
; %bb.0:
	s_load_dwordx4 s[0:3], s[4:5], 0x28
	v_lshrrev_b32_e32 v1, 4, v0
	v_mov_b32_e32 v93, 0
	v_lshl_or_b32 v92, s6, 4, v1
	s_waitcnt lgkmcnt(0)
	v_cmp_gt_u64_e32 vcc_lo, s[0:1], v[92:93]
	s_and_saveexec_b32 s0, vcc_lo
	s_cbranch_execz .LBB0_15
; %bb.1:
	s_clause 0x1
	s_load_dwordx2 s[6:7], s[4:5], 0x0
	s_load_dwordx2 s[12:13], s[4:5], 0x38
	v_and_b32_e32 v95, 15, v0
	v_mul_u32_u24_e32 v96, 0x70, v1
	v_cmp_gt_u32_e32 vcc_lo, 7, v95
	v_lshlrev_b32_e32 v93, 4, v95
	v_or_b32_e32 v64, v96, v95
	v_add_lshl_u32 v42, v96, v95, 4
	v_or_b32_e32 v94, 56, v95
	s_and_saveexec_b32 s1, vcc_lo
	s_cbranch_execz .LBB0_3
; %bb.2:
	s_load_dwordx2 s[8:9], s[4:5], 0x18
	s_waitcnt lgkmcnt(0)
	s_load_dwordx4 s[8:11], s[8:9], 0x0
	s_waitcnt lgkmcnt(0)
	v_mad_u64_u32 v[0:1], null, s10, v92, 0
	v_mad_u64_u32 v[2:3], null, s8, v95, 0
	s_mul_i32 s10, s9, 0x70
	v_mad_u64_u32 v[8:9], null, s8, v94, 0
	v_mad_u64_u32 v[4:5], null, s11, v92, v[1:2]
	s_mul_hi_u32 s11, s8, 0x70
	v_mad_u64_u32 v[5:6], null, s9, v95, v[3:4]
	v_mov_b32_e32 v1, v4
	v_lshlrev_b64 v[0:1], 4, v[0:1]
	v_mov_b32_e32 v3, v5
	v_add_co_u32 v18, s0, s2, v0
	v_lshlrev_b64 v[2:3], 4, v[2:3]
	v_add_co_ci_u32_e64 v19, s0, s3, v1, s0
	s_mul_i32 s2, s8, 0x70
	s_add_i32 s3, s11, s10
	v_mov_b32_e32 v0, v9
	v_add_co_u32 v32, s0, v18, v2
	v_add_co_ci_u32_e64 v33, s0, v19, v3, s0
	v_mad_u64_u32 v[9:10], null, s9, v94, v[0:1]
	v_add_co_u32 v40, s0, v32, s2
	v_add_co_ci_u32_e64 v41, s0, s3, v33, s0
	s_clause 0x1
	global_load_dwordx4 v[0:3], v93, s[6:7]
	global_load_dwordx4 v[4:7], v93, s[6:7] offset:112
	v_add_co_u32 v65, s0, v40, s2
	v_add_co_ci_u32_e64 v66, s0, s3, v41, s0
	v_lshlrev_b64 v[16:17], 4, v[8:9]
	v_add_co_u32 v77, s0, v65, s2
	v_add_co_ci_u32_e64 v78, s0, s3, v66, s0
	s_clause 0x1
	global_load_dwordx4 v[8:11], v93, s[6:7] offset:224
	global_load_dwordx4 v[12:15], v93, s[6:7] offset:336
	v_add_co_u32 v81, s0, v77, s2
	v_add_co_ci_u32_e64 v82, s0, s3, v78, s0
	v_add_co_u32 v85, s0, v81, s2
	v_add_co_ci_u32_e64 v86, s0, s3, v82, s0
	;; [unrolled: 2-line block ×5, first 2 shown]
	v_mad_u64_u32 v[105:106], null, 0xe0, s8, v[101:102]
	s_clause 0x3
	global_load_dwordx4 v[16:19], v93, s[6:7] offset:448
	global_load_dwordx4 v[20:23], v93, s[6:7] offset:560
	global_load_dwordx4 v[24:27], v93, s[6:7] offset:672
	global_load_dwordx4 v[28:31], v93, s[6:7] offset:784
	s_clause 0x1
	global_load_dwordx4 v[32:35], v[32:33], off
	global_load_dwordx4 v[36:39], v[36:37], off
	s_clause 0x1
	global_load_dwordx4 v[43:46], v93, s[6:7] offset:896
	global_load_dwordx4 v[47:50], v93, s[6:7] offset:1008
	global_load_dwordx4 v[51:54], v[40:41], off
	v_mov_b32_e32 v55, v106
	v_mad_u64_u32 v[40:41], null, 0xe0, s9, v[55:56]
	s_clause 0x1
	global_load_dwordx4 v[55:58], v93, s[6:7] offset:1120
	global_load_dwordx4 v[59:62], v93, s[6:7] offset:1232
	global_load_dwordx4 v[65:68], v[65:66], off
	s_clause 0x1
	global_load_dwordx4 v[69:72], v93, s[6:7] offset:1344
	global_load_dwordx4 v[73:76], v93, s[6:7] offset:1456
	s_clause 0x1
	global_load_dwordx4 v[77:80], v[77:78], off
	global_load_dwordx4 v[81:84], v[81:82], off
	;; [unrolled: 1-line block ×5, first 2 shown]
	v_mov_b32_e32 v106, v40
	v_add_co_u32 v40, s0, v105, s2
	v_add_co_ci_u32_e64 v41, s0, s3, v106, s0
	v_add_co_u32 v89, s0, v40, s2
	global_load_dwordx4 v[105:108], v[105:106], off
	v_add_co_ci_u32_e64 v90, s0, s3, v41, s0
	v_add_co_u32 v117, s0, v89, s2
	global_load_dwordx4 v[109:112], v[40:41], off
	;; [unrolled: 3-line block ×4, first 2 shown]
	v_add_co_ci_u32_e64 v90, s0, s3, v41, s0
	v_add_co_u32 v137, s0, v89, s2
	v_add_co_ci_u32_e64 v138, s0, s3, v90, s0
	global_load_dwordx4 v[121:124], v[40:41], off
	global_load_dwordx4 v[125:128], v[89:90], off
	s_clause 0x1
	global_load_dwordx4 v[129:132], v93, s[6:7] offset:1568
	global_load_dwordx4 v[133:136], v93, s[6:7] offset:1680
	global_load_dwordx4 v[137:140], v[137:138], off
	s_waitcnt vmcnt(23)
	v_mul_f64 v[40:41], v[34:35], v[2:3]
	v_mul_f64 v[2:3], v[32:33], v[2:3]
	s_waitcnt vmcnt(21)
	v_mul_f64 v[89:90], v[38:39], v[45:46]
	v_mul_f64 v[45:46], v[36:37], v[45:46]
	;; [unrolled: 3-line block ×6, first 2 shown]
	v_fma_f64 v[32:33], v[32:33], v[0:1], v[40:41]
	s_waitcnt vmcnt(11)
	v_mul_f64 v[40:41], v[87:88], v[22:23]
	v_mul_f64 v[22:23], v[85:86], v[22:23]
	v_fma_f64 v[34:35], v[34:35], v[0:1], -v[2:3]
	v_fma_f64 v[0:1], v[36:37], v[43:44], v[89:90]
	v_fma_f64 v[2:3], v[38:39], v[43:44], -v[45:46]
	s_waitcnt vmcnt(10)
	v_mul_f64 v[43:44], v[99:100], v[26:27]
	v_mul_f64 v[26:27], v[97:98], v[26:27]
	s_waitcnt vmcnt(9)
	v_mul_f64 v[45:46], v[103:104], v[30:31]
	v_mul_f64 v[30:31], v[101:102], v[30:31]
	v_fma_f64 v[36:37], v[51:52], v[4:5], v[141:142]
	s_waitcnt vmcnt(8)
	v_mul_f64 v[51:52], v[107:108], v[49:50]
	v_mul_f64 v[49:50], v[105:106], v[49:50]
	v_fma_f64 v[38:39], v[53:54], v[4:5], -v[6:7]
	s_waitcnt vmcnt(7)
	v_mul_f64 v[53:54], v[111:112], v[57:58]
	v_mul_f64 v[57:58], v[109:110], v[57:58]
	v_fma_f64 v[4:5], v[65:66], v[8:9], v[143:144]
	s_waitcnt vmcnt(6)
	v_mul_f64 v[65:66], v[115:116], v[61:62]
	v_mul_f64 v[61:62], v[113:114], v[61:62]
	v_fma_f64 v[6:7], v[67:68], v[8:9], -v[10:11]
	v_fma_f64 v[8:9], v[77:78], v[12:13], v[145:146]
	v_fma_f64 v[10:11], v[79:80], v[12:13], -v[14:15]
	s_waitcnt vmcnt(5)
	v_mul_f64 v[67:68], v[119:120], v[71:72]
	v_mul_f64 v[71:72], v[117:118], v[71:72]
	v_fma_f64 v[12:13], v[81:82], v[16:17], v[147:148]
	v_fma_f64 v[14:15], v[83:84], v[16:17], -v[18:19]
	s_waitcnt vmcnt(4)
	v_mul_f64 v[77:78], v[123:124], v[75:76]
	v_mul_f64 v[75:76], v[121:122], v[75:76]
	s_waitcnt vmcnt(2)
	v_mul_f64 v[79:80], v[127:128], v[131:132]
	v_mul_f64 v[89:90], v[125:126], v[131:132]
	;; [unrolled: 3-line block ×3, first 2 shown]
	v_fma_f64 v[16:17], v[85:86], v[20:21], v[40:41]
	v_fma_f64 v[18:19], v[87:88], v[20:21], -v[22:23]
	v_fma_f64 v[20:21], v[97:98], v[24:25], v[43:44]
	v_fma_f64 v[22:23], v[99:100], v[24:25], -v[26:27]
	;; [unrolled: 2-line block ×7, first 2 shown]
	v_lshlrev_b32_e32 v40, 4, v64
	v_lshl_add_u32 v41, v96, 4, v93
	v_fma_f64 v[55:56], v[121:122], v[73:74], v[77:78]
	v_fma_f64 v[57:58], v[123:124], v[73:74], -v[75:76]
	v_fma_f64 v[59:60], v[125:126], v[129:130], v[79:80]
	v_fma_f64 v[61:62], v[127:128], v[129:130], -v[89:90]
	;; [unrolled: 2-line block ×3, first 2 shown]
	ds_write_b128 v40, v[32:35]
	ds_write_b128 v42, v[36:39] offset:112
	ds_write_b128 v41, v[4:7] offset:224
	;; [unrolled: 1-line block ×15, first 2 shown]
.LBB0_3:
	s_or_b32 exec_lo, exec_lo, s1
	s_clause 0x1
	s_load_dwordx2 s[0:1], s[4:5], 0x20
	s_load_dwordx2 s[4:5], s[4:5], 0x8
	v_lshlrev_b32_e32 v88, 4, v96
	s_waitcnt lgkmcnt(0)
	s_barrier
	buffer_gl0_inv
                                        ; implicit-def: $vgpr54_vgpr55
                                        ; implicit-def: $vgpr30_vgpr31
                                        ; implicit-def: $vgpr22_vgpr23
                                        ; implicit-def: $vgpr6_vgpr7
                                        ; implicit-def: $vgpr60_vgpr61
                                        ; implicit-def: $vgpr48_vgpr49
                                        ; implicit-def: $vgpr56_vgpr57
                                        ; implicit-def: $vgpr36_vgpr37
                                        ; implicit-def: $vgpr44_vgpr45
                                        ; implicit-def: $vgpr32_vgpr33
                                        ; implicit-def: $vgpr16_vgpr17
                                        ; implicit-def: $vgpr8_vgpr9
                                        ; implicit-def: $vgpr24_vgpr25
                                        ; implicit-def: $vgpr0_vgpr1
                                        ; implicit-def: $vgpr12_vgpr13
                                        ; implicit-def: $vgpr40_vgpr41
	s_and_saveexec_b32 s2, vcc_lo
	s_cbranch_execz .LBB0_5
; %bb.4:
	v_lshlrev_b32_e32 v0, 4, v64
	v_lshl_add_u32 v52, v95, 4, v88
	ds_read_b128 v[4:7], v0
	ds_read_b128 v[12:15], v52 offset:224
	ds_read_b128 v[0:3], v52 offset:336
	;; [unrolled: 1-line block ×15, first 2 shown]
.LBB0_5:
	s_or_b32 exec_lo, exec_lo, s2
	s_waitcnt lgkmcnt(8)
	v_add_f64 v[32:33], v[4:5], -v[32:33]
	v_add_f64 v[34:35], v[6:7], -v[34:35]
	s_waitcnt lgkmcnt(4)
	v_add_f64 v[56:57], v[24:25], -v[56:57]
	v_add_f64 v[58:59], v[26:27], -v[58:59]
	;; [unrolled: 1-line block ×4, first 2 shown]
	s_waitcnt lgkmcnt(2)
	v_add_f64 v[60:61], v[20:21], -v[60:61]
	v_add_f64 v[62:63], v[22:23], -v[62:63]
	s_waitcnt lgkmcnt(1)
	v_add_f64 v[28:29], v[40:41], -v[28:29]
	v_add_f64 v[30:31], v[42:43], -v[30:31]
	;; [unrolled: 1-line block ×6, first 2 shown]
	s_waitcnt lgkmcnt(0)
	v_add_f64 v[54:55], v[18:19], -v[54:55]
	v_add_f64 v[52:53], v[16:17], -v[52:53]
	s_mov_b32 s2, 0x667f3bcd
	s_mov_b32 s3, 0xbfe6a09e
	;; [unrolled: 1-line block ×6, first 2 shown]
	v_fma_f64 v[4:5], v[4:5], 2.0, -v[32:33]
	v_fma_f64 v[6:7], v[6:7], 2.0, -v[34:35]
	;; [unrolled: 1-line block ×4, first 2 shown]
	v_add_f64 v[58:59], v[32:33], -v[58:59]
	v_add_f64 v[56:57], v[34:35], v[56:57]
	v_fma_f64 v[20:21], v[20:21], 2.0, -v[60:61]
	v_fma_f64 v[22:23], v[22:23], 2.0, -v[62:63]
	v_add_f64 v[62:63], v[44:45], -v[62:63]
	v_add_f64 v[60:61], v[60:61], v[46:47]
	v_add_f64 v[67:68], v[48:49], v[30:31]
	v_add_f64 v[65:66], v[28:29], -v[50:51]
	v_fma_f64 v[12:13], v[12:13], 2.0, -v[44:45]
	v_fma_f64 v[14:15], v[14:15], 2.0, -v[46:47]
	v_add_f64 v[69:70], v[36:37], -v[54:55]
	v_add_f64 v[71:72], v[52:53], v[38:39]
	v_fma_f64 v[40:41], v[40:41], 2.0, -v[28:29]
	v_fma_f64 v[42:43], v[42:43], 2.0, -v[30:31]
	;; [unrolled: 1-line block ×8, first 2 shown]
	v_add_f64 v[18:19], v[4:5], -v[24:25]
	v_add_f64 v[24:25], v[6:7], -v[26:27]
	v_fma_f64 v[26:27], v[32:33], 2.0, -v[58:59]
	v_fma_f64 v[32:33], v[34:35], 2.0, -v[56:57]
	s_mov_b32 s15, 0x3fed906b
	s_mov_b32 s14, s10
	v_fma_f64 v[34:35], v[44:45], 2.0, -v[62:63]
	v_fma_f64 v[44:45], v[46:47], 2.0, -v[60:61]
	;; [unrolled: 1-line block ×4, first 2 shown]
	v_add_f64 v[20:21], v[12:13], -v[20:21]
	v_add_f64 v[22:23], v[14:15], -v[22:23]
	v_fma_f64 v[36:37], v[36:37], 2.0, -v[69:70]
	v_fma_f64 v[38:39], v[38:39], 2.0, -v[71:72]
	v_fma_f64 v[54:55], v[69:70], s[8:9], v[65:66]
	v_fma_f64 v[73:74], v[71:72], s[8:9], v[67:68]
	v_add_f64 v[46:47], v[40:41], -v[8:9]
	v_add_f64 v[50:51], v[42:43], -v[10:11]
	v_fma_f64 v[8:9], v[62:63], s[8:9], v[58:59]
	v_fma_f64 v[10:11], v[60:61], s[8:9], v[56:57]
	v_add_f64 v[52:53], v[48:49], -v[0:1]
	v_add_f64 v[16:17], v[2:3], -v[16:17]
	v_fma_f64 v[83:84], v[4:5], 2.0, -v[18:19]
	v_fma_f64 v[85:86], v[6:7], 2.0, -v[24:25]
	s_mov_b32 s16, 0xa6aea964
	s_mov_b32 s17, 0xbfd87de2
	s_mov_b32 s19, 0x3fd87de2
	s_mov_b32 s18, s16
	v_fma_f64 v[75:76], v[34:35], s[2:3], v[26:27]
	v_fma_f64 v[77:78], v[44:45], s[2:3], v[32:33]
	s_barrier
	v_fma_f64 v[4:5], v[12:13], 2.0, -v[20:21]
	v_fma_f64 v[6:7], v[14:15], 2.0, -v[22:23]
	v_fma_f64 v[79:80], v[36:37], s[2:3], v[28:29]
	v_fma_f64 v[81:82], v[38:39], s[2:3], v[30:31]
	v_add_f64 v[0:1], v[18:19], -v[22:23]
	v_add_f64 v[12:13], v[24:25], v[20:21]
	v_fma_f64 v[40:41], v[40:41], 2.0, -v[46:47]
	v_fma_f64 v[42:43], v[42:43], 2.0, -v[50:51]
	v_fma_f64 v[89:90], v[60:61], s[2:3], v[8:9]
	v_fma_f64 v[97:98], v[62:63], s[8:9], v[10:11]
	v_fma_f64 v[14:15], v[48:49], 2.0, -v[52:53]
	v_fma_f64 v[22:23], v[2:3], 2.0, -v[16:17]
	v_add_f64 v[48:49], v[46:47], -v[16:17]
	v_add_f64 v[99:100], v[52:53], v[50:51]
	v_fma_f64 v[54:55], v[71:72], s[2:3], v[54:55]
	v_fma_f64 v[52:53], v[69:70], s[8:9], v[73:74]
	buffer_gl0_inv
	v_fma_f64 v[2:3], v[44:45], s[2:3], v[75:76]
	v_fma_f64 v[10:11], v[34:35], s[8:9], v[77:78]
	v_add_f64 v[4:5], v[83:84], -v[4:5]
	v_add_f64 v[62:63], v[85:86], -v[6:7]
	v_fma_f64 v[34:35], v[38:39], s[2:3], v[79:80]
	v_fma_f64 v[69:70], v[36:37], s[8:9], v[81:82]
	v_fma_f64 v[6:7], v[18:19], 2.0, -v[0:1]
	v_fma_f64 v[16:17], v[24:25], 2.0, -v[12:13]
	v_fma_f64 v[8:9], v[58:59], 2.0, -v[89:90]
	v_fma_f64 v[20:21], v[56:57], 2.0, -v[97:98]
	v_add_f64 v[24:25], v[40:41], -v[14:15]
	v_add_f64 v[36:37], v[42:43], -v[22:23]
	v_fma_f64 v[46:47], v[46:47], 2.0, -v[48:49]
	v_fma_f64 v[44:45], v[50:51], 2.0, -v[99:100]
	;; [unrolled: 1-line block ×4, first 2 shown]
	v_fma_f64 v[38:39], v[54:55], s[14:15], v[89:90]
	v_fma_f64 v[58:59], v[99:100], s[8:9], v[12:13]
	v_fma_f64 v[14:15], v[26:27], 2.0, -v[2:3]
	v_fma_f64 v[60:61], v[32:33], 2.0, -v[10:11]
	;; [unrolled: 1-line block ×6, first 2 shown]
	v_fma_f64 v[28:29], v[52:53], s[14:15], v[97:98]
	v_fma_f64 v[30:31], v[48:49], s[8:9], v[0:1]
	v_fma_f64 v[77:78], v[34:35], s[18:19], v[2:3]
	v_fma_f64 v[79:80], v[69:70], s[18:19], v[10:11]
	v_fma_f64 v[40:41], v[40:41], 2.0, -v[24:25]
	v_fma_f64 v[42:43], v[42:43], 2.0, -v[36:37]
	v_fma_f64 v[67:68], v[46:47], s[2:3], v[6:7]
	v_fma_f64 v[71:72], v[44:45], s[2:3], v[16:17]
	;; [unrolled: 1-line block ×5, first 2 shown]
	v_add_f64 v[36:37], v[4:5], -v[36:37]
	v_add_f64 v[38:39], v[62:63], v[24:25]
	v_fma_f64 v[58:59], v[48:49], s[8:9], v[58:59]
	v_fma_f64 v[81:82], v[26:27], s[10:11], v[14:15]
	;; [unrolled: 1-line block ×6, first 2 shown]
	v_add_f64 v[28:29], v[18:19], -v[40:41]
	v_add_f64 v[30:31], v[22:23], -v[42:43]
	v_fma_f64 v[44:45], v[44:45], s[2:3], v[67:68]
	v_fma_f64 v[46:47], v[46:47], s[8:9], v[71:72]
	;; [unrolled: 1-line block ×5, first 2 shown]
	v_fma_f64 v[24:25], v[89:90], 2.0, -v[52:53]
	v_fma_f64 v[32:33], v[32:33], s[16:17], v[81:82]
	v_fma_f64 v[34:35], v[26:27], s[18:19], v[83:84]
	v_fma_f64 v[26:27], v[97:98], 2.0, -v[54:55]
	s_and_saveexec_b32 s2, vcc_lo
	s_cbranch_execz .LBB0_7
; %bb.6:
	v_fma_f64 v[75:76], v[22:23], 2.0, -v[30:31]
	v_fma_f64 v[73:74], v[18:19], 2.0, -v[28:29]
	;; [unrolled: 1-line block ×14, first 2 shown]
	v_add_lshl_u32 v0, v96, v93, 4
	ds_write_b128 v0, v[24:27] offset:112
	ds_write_b128 v0, v[73:76]
	ds_write_b128 v0, v[69:72] offset:16
	ds_write_b128 v0, v[14:17] offset:32
	;; [unrolled: 1-line block ×14, first 2 shown]
.LBB0_7:
	s_or_b32 exec_lo, exec_lo, s2
	v_mul_u32_u24_e32 v0, 6, v95
	s_load_dwordx4 s[0:3], s[0:1], 0x0
	s_waitcnt lgkmcnt(0)
	s_barrier
	buffer_gl0_inv
	v_lshlrev_b32_e32 v12, 4, v0
	v_lshlrev_b32_e32 v97, 4, v64
	s_mov_b32 s8, 0x36b3c0b5
	s_mov_b32 s10, 0xe976ee23
	;; [unrolled: 1-line block ×3, first 2 shown]
	s_clause 0x5
	global_load_dwordx4 v[4:7], v12, s[4:5]
	global_load_dwordx4 v[0:3], v12, s[4:5] offset:16
	global_load_dwordx4 v[8:11], v12, s[4:5] offset:80
	;; [unrolled: 1-line block ×5, first 2 shown]
	ds_read_b128 v[60:63], v97 offset:256
	ds_read_b128 v[64:67], v97 offset:512
	ds_read_b128 v[68:71], v97 offset:1536
	ds_read_b128 v[72:75], v97 offset:1280
	ds_read_b128 v[76:79], v97 offset:768
	ds_read_b128 v[80:83], v97 offset:1024
	s_mov_b32 s4, 0x37e14327
	s_mov_b32 s5, 0x3fe948f6
	s_mov_b32 s11, 0xbfe11646
	s_mov_b32 s15, 0x3fe77f67
	s_mov_b32 s14, 0x5476071b
	s_mov_b32 s17, 0x3fd5d0dc
	s_mov_b32 s16, 0xb247c609
	s_waitcnt vmcnt(5) lgkmcnt(5)
	v_mul_f64 v[84:85], v[62:63], v[6:7]
	v_mul_f64 v[86:87], v[60:61], v[6:7]
	s_waitcnt vmcnt(4) lgkmcnt(4)
	v_mul_f64 v[89:90], v[66:67], v[2:3]
	v_mul_f64 v[98:99], v[64:65], v[2:3]
	;; [unrolled: 3-line block ×6, first 2 shown]
	v_fma_f64 v[60:61], v[60:61], v[4:5], -v[84:85]
	v_fma_f64 v[62:63], v[62:63], v[4:5], v[86:87]
	v_fma_f64 v[64:65], v[64:65], v[0:1], -v[89:90]
	v_fma_f64 v[66:67], v[66:67], v[0:1], v[98:99]
	;; [unrolled: 2-line block ×6, first 2 shown]
	v_add_f64 v[84:85], v[60:61], v[68:69]
	v_add_f64 v[86:87], v[62:63], v[70:71]
	;; [unrolled: 1-line block ×4, first 2 shown]
	v_add_f64 v[64:65], v[64:65], -v[72:73]
	v_add_f64 v[66:67], v[66:67], -v[74:75]
	v_add_f64 v[100:101], v[76:77], v[80:81]
	v_add_f64 v[102:103], v[78:79], v[82:83]
	v_add_f64 v[72:73], v[80:81], -v[76:77]
	v_add_f64 v[74:75], v[82:83], -v[78:79]
	;; [unrolled: 1-line block ×4, first 2 shown]
	ds_read_b128 v[60:63], v97
	v_add_f64 v[76:77], v[89:90], v[84:85]
	v_add_f64 v[78:79], v[98:99], v[86:87]
	v_add_f64 v[80:81], v[84:85], -v[100:101]
	v_add_f64 v[82:83], v[86:87], -v[102:103]
	;; [unrolled: 1-line block ×10, first 2 shown]
	v_add_f64 v[64:65], v[72:73], v[64:65]
	v_add_f64 v[66:67], v[74:75], v[66:67]
	v_add_f64 v[72:73], v[68:69], -v[72:73]
	v_add_f64 v[74:75], v[70:71], -v[74:75]
	v_add_f64 v[76:77], v[100:101], v[76:77]
	v_add_f64 v[78:79], v[102:103], v[78:79]
	v_mul_f64 v[80:81], v[80:81], s[4:5]
	v_mul_f64 v[82:83], v[82:83], s[4:5]
	s_mov_b32 s4, 0x429ad128
	v_mul_f64 v[89:90], v[104:105], s[8:9]
	v_mul_f64 v[98:99], v[106:107], s[8:9]
	;; [unrolled: 1-line block ×4, first 2 shown]
	s_mov_b32 s5, 0x3febfeb5
	s_mov_b32 s10, 0xaaaaaaaa
	v_mul_f64 v[108:109], v[112:113], s[4:5]
	v_mul_f64 v[110:111], v[114:115], s[4:5]
	s_mov_b32 s11, 0xbff2aaaa
	v_add_f64 v[64:65], v[64:65], v[68:69]
	v_add_f64 v[66:67], v[66:67], v[70:71]
	s_waitcnt lgkmcnt(0)
	v_add_f64 v[60:61], v[60:61], v[76:77]
	v_add_f64 v[62:63], v[62:63], v[78:79]
	v_fma_f64 v[68:69], v[104:105], s[8:9], v[80:81]
	v_fma_f64 v[70:71], v[106:107], s[8:9], v[82:83]
	v_fma_f64 v[89:90], v[84:85], s[14:15], -v[89:90]
	v_fma_f64 v[98:99], v[86:87], s[14:15], -v[98:99]
	s_mov_b32 s15, 0xbfe77f67
	v_fma_f64 v[104:105], v[72:73], s[16:17], v[100:101]
	v_fma_f64 v[106:107], v[74:75], s[16:17], v[102:103]
	s_mov_b32 s17, 0xbfd5d0dc
	v_fma_f64 v[100:101], v[112:113], s[4:5], -v[100:101]
	v_fma_f64 v[102:103], v[114:115], s[4:5], -v[102:103]
	;; [unrolled: 1-line block ×6, first 2 shown]
	s_mov_b32 s4, 0x37c3f68c
	s_mov_b32 s5, 0x3fdc38aa
	v_fma_f64 v[76:77], v[76:77], s[10:11], v[60:61]
	v_fma_f64 v[78:79], v[78:79], s[10:11], v[62:63]
	;; [unrolled: 1-line block ×8, first 2 shown]
	v_add_f64 v[108:109], v[68:69], v[76:77]
	v_add_f64 v[110:111], v[70:71], v[78:79]
	;; [unrolled: 1-line block ×6, first 2 shown]
	v_lshl_add_u32 v98, v95, 4, v88
	v_add_f64 v[64:65], v[84:85], v[108:109]
	v_add_f64 v[66:67], v[110:111], -v[86:87]
	v_add_f64 v[68:69], v[106:107], v[80:81]
	v_add_f64 v[70:71], v[82:83], -v[104:105]
	v_add_f64 v[72:73], v[76:77], -v[102:103]
	v_add_f64 v[74:75], v[100:101], v[78:79]
	v_add_f64 v[76:77], v[102:103], v[76:77]
	v_add_f64 v[78:79], v[78:79], -v[100:101]
	v_add_f64 v[80:81], v[80:81], -v[106:107]
	v_add_f64 v[82:83], v[104:105], v[82:83]
	v_add_f64 v[84:85], v[108:109], -v[84:85]
	v_add_f64 v[86:87], v[86:87], v[110:111]
	ds_write_b128 v97, v[60:63]
	ds_write_b128 v98, v[64:67] offset:256
	ds_write_b128 v98, v[68:71] offset:512
	;; [unrolled: 1-line block ×6, first 2 shown]
	s_waitcnt lgkmcnt(0)
	s_barrier
	buffer_gl0_inv
	s_and_saveexec_b32 s8, vcc_lo
	s_cbranch_execz .LBB0_9
; %bb.8:
	global_load_dwordx4 v[99:102], v93, s[6:7] offset:1792
	s_add_u32 s4, s6, 0x700
	s_addc_u32 s5, s7, 0
	s_clause 0xe
	global_load_dwordx4 v[88:91], v93, s[4:5] offset:112
	global_load_dwordx4 v[103:106], v93, s[4:5] offset:224
	global_load_dwordx4 v[107:110], v93, s[4:5] offset:336
	global_load_dwordx4 v[111:114], v93, s[4:5] offset:448
	global_load_dwordx4 v[115:118], v93, s[4:5] offset:560
	global_load_dwordx4 v[119:122], v93, s[4:5] offset:672
	global_load_dwordx4 v[123:126], v93, s[4:5] offset:784
	global_load_dwordx4 v[127:130], v93, s[4:5] offset:896
	global_load_dwordx4 v[131:134], v93, s[4:5] offset:1008
	global_load_dwordx4 v[135:138], v93, s[4:5] offset:1120
	global_load_dwordx4 v[139:142], v93, s[4:5] offset:1232
	global_load_dwordx4 v[143:146], v93, s[4:5] offset:1344
	global_load_dwordx4 v[147:150], v93, s[4:5] offset:1456
	global_load_dwordx4 v[151:154], v93, s[4:5] offset:1568
	global_load_dwordx4 v[155:158], v93, s[4:5] offset:1680
	ds_read_b128 v[159:162], v97
	s_waitcnt vmcnt(15) lgkmcnt(0)
	v_mul_f64 v[163:164], v[161:162], v[101:102]
	v_mul_f64 v[101:102], v[159:160], v[101:102]
	v_fma_f64 v[159:160], v[159:160], v[99:100], -v[163:164]
	v_fma_f64 v[161:162], v[161:162], v[99:100], v[101:102]
	ds_write_b128 v97, v[159:162]
	ds_read_b128 v[99:102], v98 offset:112
	ds_read_b128 v[159:162], v98 offset:224
	;; [unrolled: 1-line block ×15, first 2 shown]
	s_waitcnt vmcnt(14) lgkmcnt(14)
	v_mul_f64 v[215:216], v[101:102], v[90:91]
	v_mul_f64 v[90:91], v[99:100], v[90:91]
	s_waitcnt vmcnt(13) lgkmcnt(13)
	v_mul_f64 v[217:218], v[161:162], v[105:106]
	v_mul_f64 v[105:106], v[159:160], v[105:106]
	;; [unrolled: 3-line block ×15, first 2 shown]
	v_fma_f64 v[99:100], v[99:100], v[88:89], -v[215:216]
	v_fma_f64 v[101:102], v[101:102], v[88:89], v[90:91]
	v_fma_f64 v[88:89], v[159:160], v[103:104], -v[217:218]
	v_fma_f64 v[90:91], v[161:162], v[103:104], v[105:106]
	;; [unrolled: 2-line block ×15, first 2 shown]
	ds_write_b128 v98, v[99:102] offset:112
	ds_write_b128 v98, v[88:91] offset:224
	;; [unrolled: 1-line block ×15, first 2 shown]
.LBB0_9:
	s_or_b32 exec_lo, exec_lo, s8
	s_waitcnt lgkmcnt(0)
	s_barrier
	buffer_gl0_inv
	s_and_saveexec_b32 s4, vcc_lo
	s_cbranch_execz .LBB0_11
; %bb.10:
	ds_read_b128 v[60:63], v97
	ds_read_b128 v[64:67], v98 offset:112
	ds_read_b128 v[68:71], v98 offset:224
	;; [unrolled: 1-line block ×15, first 2 shown]
.LBB0_11:
	s_or_b32 exec_lo, exec_lo, s4
	s_waitcnt lgkmcnt(0)
	s_barrier
	buffer_gl0_inv
	s_and_saveexec_b32 s14, vcc_lo
	s_cbranch_execz .LBB0_13
; %bb.12:
	v_add_f64 v[46:47], v[70:71], -v[46:47]
	v_add_f64 v[56:57], v[84:85], -v[56:57]
	;; [unrolled: 1-line block ×16, first 2 shown]
	s_mov_b32 s4, 0x667f3bcd
	s_mov_b32 s5, 0x3fe6a09e
	;; [unrolled: 1-line block ×7, first 2 shown]
	v_add_f64 v[88:89], v[46:47], -v[56:57]
	v_fma_f64 v[62:63], v[62:63], 2.0, -v[30:31]
	v_add_f64 v[90:91], v[30:31], -v[36:37]
	v_fma_f64 v[36:37], v[76:77], 2.0, -v[36:37]
	v_add_f64 v[99:100], v[58:59], v[44:45]
	v_fma_f64 v[68:69], v[68:69], 2.0, -v[44:45]
	v_add_f64 v[101:102], v[42:43], -v[52:53]
	v_fma_f64 v[24:25], v[24:25], 2.0, -v[52:53]
	v_add_f64 v[103:104], v[34:35], -v[48:49]
	v_fma_f64 v[58:59], v[86:87], 2.0, -v[58:59]
	v_add_f64 v[105:106], v[54:55], v[40:41]
	v_fma_f64 v[72:73], v[72:73], 2.0, -v[40:41]
	v_add_f64 v[107:108], v[50:51], v[32:33]
	;; [unrolled: 2-line block ×3, first 2 shown]
	v_fma_f64 v[38:39], v[78:79], 2.0, -v[38:39]
	v_fma_f64 v[64:65], v[70:71], 2.0, -v[46:47]
	;; [unrolled: 1-line block ×12, first 2 shown]
	v_fma_f64 v[54:55], v[88:89], s[4:5], v[90:91]
	v_fma_f64 v[42:43], v[42:43], 2.0, -v[101:102]
	s_mov_b32 s17, 0xbfd87de2
	v_fma_f64 v[34:35], v[34:35], 2.0, -v[103:104]
	v_fma_f64 v[74:75], v[101:102], s[4:5], v[103:104]
	v_fma_f64 v[40:41], v[40:41], 2.0, -v[105:106]
	v_add_f64 v[24:25], v[72:73], -v[24:25]
	v_fma_f64 v[32:33], v[32:33], 2.0, -v[107:108]
	v_fma_f64 v[76:77], v[105:106], s[4:5], v[107:108]
	v_fma_f64 v[28:29], v[28:29], 2.0, -v[109:110]
	v_add_f64 v[38:39], v[62:63], -v[38:39]
	v_add_f64 v[58:59], v[64:65], -v[58:59]
	;; [unrolled: 1-line block ×5, first 2 shown]
	v_fma_f64 v[78:79], v[99:100], s[4:5], v[109:110]
	v_add_f64 v[50:51], v[66:67], -v[50:51]
	s_mov_b32 s18, s16
	v_add_f64 v[26:27], v[70:71], -v[26:27]
	s_mov_b32 s21, 0xbfed906b
	v_fma_f64 v[80:81], v[46:47], s[8:9], v[30:31]
	s_mov_b32 s20, s10
	v_fma_f64 v[99:100], v[99:100], s[8:9], v[54:55]
	v_fma_f64 v[82:83], v[42:43], s[8:9], v[34:35]
	v_fma_f64 v[84:85], v[40:41], s[8:9], v[32:33]
	v_fma_f64 v[86:87], v[44:45], s[8:9], v[28:29]
	v_fma_f64 v[54:55], v[62:63], 2.0, -v[38:39]
	v_fma_f64 v[62:63], v[64:65], 2.0, -v[58:59]
	;; [unrolled: 1-line block ×6, first 2 shown]
	v_fma_f64 v[72:73], v[105:106], s[8:9], v[74:75]
	v_add_f64 v[56:57], v[38:39], -v[56:57]
	v_add_f64 v[24:25], v[50:51], -v[24:25]
	v_fma_f64 v[66:67], v[66:67], 2.0, -v[50:51]
	v_fma_f64 v[70:71], v[70:71], 2.0, -v[26:27]
	v_fma_f64 v[74:75], v[101:102], s[4:5], v[76:77]
	v_fma_f64 v[76:77], v[88:89], s[4:5], v[78:79]
	v_add_f64 v[78:79], v[26:27], v[48:49]
	v_add_f64 v[88:89], v[36:37], v[58:59]
	v_fma_f64 v[80:81], v[44:45], s[8:9], v[80:81]
	v_fma_f64 v[58:59], v[40:41], s[8:9], v[82:83]
	;; [unrolled: 1-line block ×4, first 2 shown]
	v_add_f64 v[82:83], v[54:55], -v[62:63]
	v_add_f64 v[42:43], v[52:53], -v[64:65]
	;; [unrolled: 1-line block ×3, first 2 shown]
	v_fma_f64 v[68:69], v[90:91], 2.0, -v[99:100]
	v_fma_f64 v[62:63], v[103:104], 2.0, -v[72:73]
	;; [unrolled: 1-line block ×4, first 2 shown]
	v_add_f64 v[38:39], v[66:67], -v[70:71]
	v_fma_f64 v[46:47], v[107:108], 2.0, -v[74:75]
	v_fma_f64 v[90:91], v[109:110], 2.0, -v[76:77]
	;; [unrolled: 1-line block ×6, first 2 shown]
	v_fma_f64 v[50:51], v[78:79], s[4:5], v[88:89]
	v_fma_f64 v[26:27], v[72:73], s[10:11], v[99:100]
	v_fma_f64 v[105:106], v[32:33], 2.0, -v[40:41]
	v_fma_f64 v[36:37], v[74:75], s[10:11], v[76:77]
	v_fma_f64 v[107:108], v[28:29], 2.0, -v[84:85]
	v_fma_f64 v[28:29], v[24:25], s[4:5], v[56:57]
	v_fma_f64 v[109:110], v[58:59], s[18:19], v[80:81]
	v_fma_f64 v[115:116], v[54:55], 2.0, -v[82:83]
	v_fma_f64 v[52:53], v[52:53], 2.0, -v[42:43]
	v_fma_f64 v[119:120], v[40:41], s[18:19], v[84:85]
	v_fma_f64 v[117:118], v[60:61], 2.0, -v[64:65]
	v_add_f64 v[34:35], v[82:83], -v[42:43]
	v_fma_f64 v[111:112], v[62:63], s[16:17], v[68:69]
	v_fma_f64 v[113:114], v[44:45], s[8:9], v[86:87]
	v_fma_f64 v[54:55], v[66:67], 2.0, -v[38:39]
	v_add_f64 v[32:33], v[64:65], v[38:39]
	v_fma_f64 v[66:67], v[46:47], s[16:17], v[90:91]
	v_fma_f64 v[60:61], v[48:49], s[8:9], v[101:102]
	;; [unrolled: 1-line block ×12, first 2 shown]
	v_add_f64 v[50:51], v[115:116], -v[54:55]
	v_add_f64 v[48:49], v[117:118], -v[52:53]
	v_fma_f64 v[40:41], v[62:63], s[10:11], v[66:67]
	v_fma_f64 v[66:67], v[82:83], 2.0, -v[34:35]
	v_fma_f64 v[44:45], v[44:45], s[4:5], v[60:61]
	v_fma_f64 v[64:65], v[64:65], 2.0, -v[32:33]
	;; [unrolled: 2-line block ×4, first 2 shown]
	v_fma_f64 v[60:61], v[88:89], 2.0, -v[28:29]
	v_fma_f64 v[56:57], v[76:77], 2.0, -v[24:25]
	;; [unrolled: 1-line block ×3, first 2 shown]
	v_add_lshl_u32 v88, v96, v93, 4
	v_fma_f64 v[74:75], v[68:69], 2.0, -v[42:43]
	v_fma_f64 v[68:69], v[84:85], 2.0, -v[36:37]
	;; [unrolled: 1-line block ×9, first 2 shown]
	ds_write_b128 v88, v[32:35] offset:192
	ds_write_b128 v88, v[28:31] offset:224
	;; [unrolled: 1-line block ×9, first 2 shown]
	ds_write_b128 v88, v[80:83]
	ds_write_b128 v88, v[76:79] offset:32
	ds_write_b128 v88, v[72:75] offset:48
	;; [unrolled: 1-line block ×6, first 2 shown]
.LBB0_13:
	s_or_b32 exec_lo, exec_lo, s14
	s_waitcnt lgkmcnt(0)
	s_barrier
	buffer_gl0_inv
	ds_read_b128 v[24:27], v97 offset:256
	ds_read_b128 v[28:31], v97 offset:512
	;; [unrolled: 1-line block ×6, first 2 shown]
	s_mov_b32 s4, 0x37e14327
	s_mov_b32 s5, 0x3fe948f6
	;; [unrolled: 1-line block ×10, first 2 shown]
	s_waitcnt lgkmcnt(5)
	v_mul_f64 v[48:49], v[6:7], v[26:27]
	v_mul_f64 v[6:7], v[6:7], v[24:25]
	s_waitcnt lgkmcnt(4)
	v_mul_f64 v[50:51], v[2:3], v[30:31]
	v_mul_f64 v[2:3], v[2:3], v[28:29]
	;; [unrolled: 3-line block ×6, first 2 shown]
	v_fma_f64 v[24:25], v[4:5], v[24:25], v[48:49]
	v_fma_f64 v[4:5], v[4:5], v[26:27], -v[6:7]
	v_fma_f64 v[6:7], v[0:1], v[28:29], v[50:51]
	v_fma_f64 v[0:1], v[0:1], v[30:31], -v[2:3]
	;; [unrolled: 2-line block ×6, first 2 shown]
	v_add_f64 v[14:15], v[24:25], v[2:3]
	v_add_f64 v[26:27], v[4:5], v[8:9]
	;; [unrolled: 1-line block ×4, first 2 shown]
	v_add_f64 v[6:7], v[6:7], -v[10:11]
	v_add_f64 v[10:11], v[0:1], -v[20:21]
	v_add_f64 v[32:33], v[22:23], v[18:19]
	v_add_f64 v[34:35], v[16:17], v[12:13]
	v_add_f64 v[18:19], v[18:19], -v[22:23]
	v_add_f64 v[12:13], v[12:13], -v[16:17]
	;; [unrolled: 1-line block ×4, first 2 shown]
	ds_read_b128 v[0:3], v97
	v_add_f64 v[8:9], v[28:29], v[14:15]
	v_add_f64 v[20:21], v[30:31], v[26:27]
	v_add_f64 v[22:23], v[14:15], -v[32:33]
	v_add_f64 v[24:25], v[26:27], -v[34:35]
	;; [unrolled: 1-line block ×10, first 2 shown]
	v_add_f64 v[6:7], v[18:19], v[6:7]
	v_add_f64 v[10:11], v[12:13], v[10:11]
	v_add_f64 v[18:19], v[16:17], -v[18:19]
	v_add_f64 v[12:13], v[4:5], -v[12:13]
	v_add_f64 v[8:9], v[32:33], v[8:9]
	v_add_f64 v[20:21], v[34:35], v[20:21]
	v_mul_f64 v[22:23], v[22:23], s[4:5]
	v_mul_f64 v[24:25], v[24:25], s[4:5]
	s_mov_b32 s4, 0x429ad128
	v_mul_f64 v[28:29], v[36:37], s[8:9]
	v_mul_f64 v[30:31], v[38:39], s[8:9]
	;; [unrolled: 1-line block ×4, first 2 shown]
	s_mov_b32 s5, 0xbfebfeb5
	s_mov_b32 s10, 0xaaaaaaaa
	v_mul_f64 v[40:41], v[44:45], s[4:5]
	v_mul_f64 v[42:43], v[46:47], s[4:5]
	s_mov_b32 s11, 0xbff2aaaa
	v_add_f64 v[6:7], v[6:7], v[16:17]
	v_add_f64 v[4:5], v[10:11], v[4:5]
	s_waitcnt lgkmcnt(0)
	v_add_f64 v[0:1], v[0:1], v[8:9]
	v_add_f64 v[2:3], v[2:3], v[20:21]
	v_fma_f64 v[10:11], v[36:37], s[8:9], v[22:23]
	v_fma_f64 v[16:17], v[38:39], s[8:9], v[24:25]
	v_fma_f64 v[28:29], v[14:15], s[14:15], -v[28:29]
	v_fma_f64 v[30:31], v[26:27], s[14:15], -v[30:31]
	s_mov_b32 s15, 0xbfe77f67
	v_fma_f64 v[36:37], v[18:19], s[16:17], v[32:33]
	v_fma_f64 v[38:39], v[12:13], s[16:17], v[34:35]
	s_mov_b32 s17, 0x3fd5d0dc
	v_fma_f64 v[14:15], v[14:15], s[14:15], -v[22:23]
	v_fma_f64 v[18:19], v[18:19], s[16:17], -v[40:41]
	;; [unrolled: 1-line block ×6, first 2 shown]
	s_mov_b32 s4, 0x37c3f68c
	s_mov_b32 s5, 0xbfdc38aa
	v_fma_f64 v[8:9], v[8:9], s[10:11], v[0:1]
	v_fma_f64 v[20:21], v[20:21], s[10:11], v[2:3]
	;; [unrolled: 1-line block ×8, first 2 shown]
	v_add_f64 v[40:41], v[10:11], v[8:9]
	v_add_f64 v[42:43], v[16:17], v[20:21]
	;; [unrolled: 1-line block ×7, first 2 shown]
	v_add_f64 v[6:7], v[42:43], -v[26:27]
	v_add_f64 v[8:9], v[38:39], v[44:45]
	v_add_f64 v[10:11], v[22:23], -v[36:37]
	v_add_f64 v[12:13], v[16:17], -v[34:35]
	v_add_f64 v[14:15], v[32:33], v[18:19]
	v_add_f64 v[16:17], v[34:35], v[16:17]
	v_add_f64 v[18:19], v[18:19], -v[32:33]
	v_add_f64 v[20:21], v[44:45], -v[38:39]
	v_add_f64 v[22:23], v[36:37], v[22:23]
	v_add_f64 v[24:25], v[40:41], -v[24:25]
	v_add_f64 v[26:27], v[26:27], v[42:43]
	ds_write_b128 v97, v[0:3]
	ds_write_b128 v98, v[4:7] offset:256
	ds_write_b128 v98, v[8:11] offset:512
	ds_write_b128 v98, v[12:15] offset:768
	ds_write_b128 v98, v[16:19] offset:1024
	ds_write_b128 v98, v[20:23] offset:1280
	ds_write_b128 v98, v[24:27] offset:1536
	s_waitcnt lgkmcnt(0)
	s_barrier
	buffer_gl0_inv
	s_and_b32 exec_lo, exec_lo, vcc_lo
	s_cbranch_execz .LBB0_15
; %bb.14:
	s_clause 0xc
	global_load_dwordx4 v[0:3], v93, s[6:7]
	global_load_dwordx4 v[4:7], v93, s[6:7] offset:112
	global_load_dwordx4 v[8:11], v93, s[6:7] offset:224
	;; [unrolled: 1-line block ×12, first 2 shown]
	v_mad_u64_u32 v[52:53], null, s2, v92, 0
	v_mad_u64_u32 v[54:55], null, s0, v95, 0
	s_mul_i32 s2, s1, 0x70
	s_mul_hi_u32 s5, s0, 0x70
	s_mul_i32 s4, s0, 0x70
	s_add_i32 s5, s5, s2
	v_mad_u64_u32 v[125:126], null, s0, v94, 0
	v_mad_u64_u32 v[56:57], null, s3, v92, v[53:54]
	s_mov_b32 s2, 0x92492492
	s_mov_b32 s3, 0x3f824924
	v_mov_b32_e32 v68, v126
	v_mad_u64_u32 v[57:58], null, s1, v95, v[55:56]
	v_mov_b32_e32 v53, v56
	v_mad_u64_u32 v[94:95], null, s1, v94, v[68:69]
	v_lshlrev_b64 v[52:53], 4, v[52:53]
	v_mov_b32_e32 v55, v57
	v_mov_b32_e32 v126, v94
	v_lshlrev_b64 v[54:55], 4, v[54:55]
	v_add_co_u32 v92, vcc_lo, s12, v52
	v_add_co_ci_u32_e32 v159, vcc_lo, s13, v53, vcc_lo
	v_lshlrev_b64 v[125:126], 4, v[125:126]
	v_add_co_u32 v111, vcc_lo, v92, v54
	v_add_co_ci_u32_e32 v112, vcc_lo, v159, v55, vcc_lo
	ds_read_b128 v[52:55], v97
	ds_read_b128 v[56:59], v98 offset:112
	ds_read_b128 v[60:63], v98 offset:224
	;; [unrolled: 1-line block ×3, first 2 shown]
	v_add_co_u32 v113, vcc_lo, v111, s4
	v_add_co_ci_u32_e32 v114, vcc_lo, s5, v112, vcc_lo
	ds_read_b128 v[68:71], v98 offset:448
	ds_read_b128 v[72:75], v98 offset:560
	;; [unrolled: 1-line block ×4, first 2 shown]
	v_add_co_u32 v115, vcc_lo, v113, s4
	v_add_co_ci_u32_e32 v116, vcc_lo, s5, v114, vcc_lo
	v_add_co_u32 v117, vcc_lo, v115, s4
	v_add_co_ci_u32_e32 v118, vcc_lo, s5, v116, vcc_lo
	;; [unrolled: 2-line block ×6, first 2 shown]
	v_mad_u64_u32 v[129:130], null, 0xe0, s0, v[127:128]
	v_mov_b32_e32 v84, v130
	v_mad_u64_u32 v[130:131], null, 0xe0, s1, v[84:85]
	ds_read_b128 v[84:87], v98 offset:896
	ds_read_b128 v[88:91], v98 offset:1008
	;; [unrolled: 1-line block ×6, first 2 shown]
	v_add_co_u32 v131, vcc_lo, v129, s4
	v_add_co_ci_u32_e32 v132, vcc_lo, s5, v130, vcc_lo
	s_waitcnt vmcnt(12) lgkmcnt(13)
	v_mul_f64 v[133:134], v[54:55], v[2:3]
	v_mul_f64 v[2:3], v[52:53], v[2:3]
	s_waitcnt vmcnt(11) lgkmcnt(12)
	v_mul_f64 v[135:136], v[58:59], v[6:7]
	v_mul_f64 v[6:7], v[56:57], v[6:7]
	;; [unrolled: 3-line block ×13, first 2 shown]
	v_fma_f64 v[52:53], v[52:53], v[0:1], v[133:134]
	v_fma_f64 v[2:3], v[0:1], v[54:55], -v[2:3]
	v_fma_f64 v[54:55], v[56:57], v[4:5], v[135:136]
	v_fma_f64 v[6:7], v[4:5], v[58:59], -v[6:7]
	;; [unrolled: 2-line block ×13, first 2 shown]
	v_mul_f64 v[0:1], v[52:53], s[2:3]
	v_mul_f64 v[2:3], v[2:3], s[2:3]
	;; [unrolled: 1-line block ×26, first 2 shown]
	v_add_co_u32 v52, vcc_lo, v131, s4
	v_add_co_ci_u32_e32 v53, vcc_lo, s5, v132, vcc_lo
	v_add_co_u32 v54, vcc_lo, v92, v125
	v_add_co_ci_u32_e32 v55, vcc_lo, v159, v126, vcc_lo
	;; [unrolled: 2-line block ×3, first 2 shown]
	global_store_dwordx4 v[111:112], v[0:3], off
	global_store_dwordx4 v[113:114], v[4:7], off
	;; [unrolled: 1-line block ×13, first 2 shown]
	global_load_dwordx4 v[0:3], v93, s[6:7] offset:1456
	v_add_co_u32 v12, vcc_lo, v56, s4
	v_add_co_ci_u32_e32 v13, vcc_lo, s5, v57, vcc_lo
	s_waitcnt vmcnt(0) lgkmcnt(0)
	v_mul_f64 v[4:5], v[109:110], v[2:3]
	v_mul_f64 v[2:3], v[107:108], v[2:3]
	v_fma_f64 v[4:5], v[107:108], v[0:1], v[4:5]
	v_fma_f64 v[2:3], v[0:1], v[109:110], -v[2:3]
	v_mul_f64 v[0:1], v[4:5], s[2:3]
	v_mul_f64 v[2:3], v[2:3], s[2:3]
	global_store_dwordx4 v[12:13], v[0:3], off
	global_load_dwordx4 v[0:3], v93, s[6:7] offset:1568
	ds_read_b128 v[4:7], v98 offset:1568
	ds_read_b128 v[8:11], v98 offset:1680
	s_waitcnt vmcnt(0) lgkmcnt(1)
	v_mul_f64 v[14:15], v[6:7], v[2:3]
	v_mul_f64 v[2:3], v[4:5], v[2:3]
	v_fma_f64 v[4:5], v[4:5], v[0:1], v[14:15]
	v_fma_f64 v[2:3], v[0:1], v[6:7], -v[2:3]
	v_mul_f64 v[0:1], v[4:5], s[2:3]
	v_mul_f64 v[2:3], v[2:3], s[2:3]
	v_add_co_u32 v4, vcc_lo, v12, s4
	v_add_co_ci_u32_e32 v5, vcc_lo, s5, v13, vcc_lo
	global_store_dwordx4 v[4:5], v[0:3], off
	global_load_dwordx4 v[0:3], v93, s[6:7] offset:1680
	v_add_co_u32 v4, vcc_lo, v4, s4
	v_add_co_ci_u32_e32 v5, vcc_lo, s5, v5, vcc_lo
	s_waitcnt vmcnt(0) lgkmcnt(0)
	v_mul_f64 v[6:7], v[10:11], v[2:3]
	v_mul_f64 v[2:3], v[8:9], v[2:3]
	v_fma_f64 v[6:7], v[8:9], v[0:1], v[6:7]
	v_fma_f64 v[2:3], v[0:1], v[10:11], -v[2:3]
	v_mul_f64 v[0:1], v[6:7], s[2:3]
	v_mul_f64 v[2:3], v[2:3], s[2:3]
	global_store_dwordx4 v[4:5], v[0:3], off
.LBB0_15:
	s_endpgm
	.section	.rodata,"a",@progbits
	.p2align	6, 0x0
	.amdhsa_kernel bluestein_single_fwd_len112_dim1_dp_op_CI_CI
		.amdhsa_group_segment_fixed_size 28672
		.amdhsa_private_segment_fixed_size 0
		.amdhsa_kernarg_size 104
		.amdhsa_user_sgpr_count 6
		.amdhsa_user_sgpr_private_segment_buffer 1
		.amdhsa_user_sgpr_dispatch_ptr 0
		.amdhsa_user_sgpr_queue_ptr 0
		.amdhsa_user_sgpr_kernarg_segment_ptr 1
		.amdhsa_user_sgpr_dispatch_id 0
		.amdhsa_user_sgpr_flat_scratch_init 0
		.amdhsa_user_sgpr_private_segment_size 0
		.amdhsa_wavefront_size32 1
		.amdhsa_uses_dynamic_stack 0
		.amdhsa_system_sgpr_private_segment_wavefront_offset 0
		.amdhsa_system_sgpr_workgroup_id_x 1
		.amdhsa_system_sgpr_workgroup_id_y 0
		.amdhsa_system_sgpr_workgroup_id_z 0
		.amdhsa_system_sgpr_workgroup_info 0
		.amdhsa_system_vgpr_workitem_id 0
		.amdhsa_next_free_vgpr 245
		.amdhsa_next_free_sgpr 22
		.amdhsa_reserve_vcc 1
		.amdhsa_reserve_flat_scratch 0
		.amdhsa_float_round_mode_32 0
		.amdhsa_float_round_mode_16_64 0
		.amdhsa_float_denorm_mode_32 3
		.amdhsa_float_denorm_mode_16_64 3
		.amdhsa_dx10_clamp 1
		.amdhsa_ieee_mode 1
		.amdhsa_fp16_overflow 0
		.amdhsa_workgroup_processor_mode 1
		.amdhsa_memory_ordered 1
		.amdhsa_forward_progress 0
		.amdhsa_shared_vgpr_count 0
		.amdhsa_exception_fp_ieee_invalid_op 0
		.amdhsa_exception_fp_denorm_src 0
		.amdhsa_exception_fp_ieee_div_zero 0
		.amdhsa_exception_fp_ieee_overflow 0
		.amdhsa_exception_fp_ieee_underflow 0
		.amdhsa_exception_fp_ieee_inexact 0
		.amdhsa_exception_int_div_zero 0
	.end_amdhsa_kernel
	.text
.Lfunc_end0:
	.size	bluestein_single_fwd_len112_dim1_dp_op_CI_CI, .Lfunc_end0-bluestein_single_fwd_len112_dim1_dp_op_CI_CI
                                        ; -- End function
	.section	.AMDGPU.csdata,"",@progbits
; Kernel info:
; codeLenInByte = 9708
; NumSgprs: 24
; NumVgprs: 245
; ScratchSize: 0
; MemoryBound: 0
; FloatMode: 240
; IeeeMode: 1
; LDSByteSize: 28672 bytes/workgroup (compile time only)
; SGPRBlocks: 2
; VGPRBlocks: 30
; NumSGPRsForWavesPerEU: 24
; NumVGPRsForWavesPerEU: 245
; Occupancy: 4
; WaveLimiterHint : 1
; COMPUTE_PGM_RSRC2:SCRATCH_EN: 0
; COMPUTE_PGM_RSRC2:USER_SGPR: 6
; COMPUTE_PGM_RSRC2:TRAP_HANDLER: 0
; COMPUTE_PGM_RSRC2:TGID_X_EN: 1
; COMPUTE_PGM_RSRC2:TGID_Y_EN: 0
; COMPUTE_PGM_RSRC2:TGID_Z_EN: 0
; COMPUTE_PGM_RSRC2:TIDIG_COMP_CNT: 0
	.text
	.p2alignl 6, 3214868480
	.fill 48, 4, 3214868480
	.type	__hip_cuid_96c05a6e46ccddea,@object ; @__hip_cuid_96c05a6e46ccddea
	.section	.bss,"aw",@nobits
	.globl	__hip_cuid_96c05a6e46ccddea
__hip_cuid_96c05a6e46ccddea:
	.byte	0                               ; 0x0
	.size	__hip_cuid_96c05a6e46ccddea, 1

	.ident	"AMD clang version 19.0.0git (https://github.com/RadeonOpenCompute/llvm-project roc-6.4.0 25133 c7fe45cf4b819c5991fe208aaa96edf142730f1d)"
	.section	".note.GNU-stack","",@progbits
	.addrsig
	.addrsig_sym __hip_cuid_96c05a6e46ccddea
	.amdgpu_metadata
---
amdhsa.kernels:
  - .args:
      - .actual_access:  read_only
        .address_space:  global
        .offset:         0
        .size:           8
        .value_kind:     global_buffer
      - .actual_access:  read_only
        .address_space:  global
        .offset:         8
        .size:           8
        .value_kind:     global_buffer
      - .actual_access:  read_only
        .address_space:  global
        .offset:         16
        .size:           8
        .value_kind:     global_buffer
      - .actual_access:  read_only
        .address_space:  global
        .offset:         24
        .size:           8
        .value_kind:     global_buffer
      - .actual_access:  read_only
        .address_space:  global
        .offset:         32
        .size:           8
        .value_kind:     global_buffer
      - .offset:         40
        .size:           8
        .value_kind:     by_value
      - .address_space:  global
        .offset:         48
        .size:           8
        .value_kind:     global_buffer
      - .address_space:  global
        .offset:         56
        .size:           8
        .value_kind:     global_buffer
      - .address_space:  global
        .offset:         64
        .size:           8
        .value_kind:     global_buffer
      - .address_space:  global
        .offset:         72
        .size:           8
        .value_kind:     global_buffer
      - .offset:         80
        .size:           4
        .value_kind:     by_value
      - .address_space:  global
        .offset:         88
        .size:           8
        .value_kind:     global_buffer
      - .address_space:  global
        .offset:         96
        .size:           8
        .value_kind:     global_buffer
    .group_segment_fixed_size: 28672
    .kernarg_segment_align: 8
    .kernarg_segment_size: 104
    .language:       OpenCL C
    .language_version:
      - 2
      - 0
    .max_flat_workgroup_size: 256
    .name:           bluestein_single_fwd_len112_dim1_dp_op_CI_CI
    .private_segment_fixed_size: 0
    .sgpr_count:     24
    .sgpr_spill_count: 0
    .symbol:         bluestein_single_fwd_len112_dim1_dp_op_CI_CI.kd
    .uniform_work_group_size: 1
    .uses_dynamic_stack: false
    .vgpr_count:     245
    .vgpr_spill_count: 0
    .wavefront_size: 32
    .workgroup_processor_mode: 1
amdhsa.target:   amdgcn-amd-amdhsa--gfx1030
amdhsa.version:
  - 1
  - 2
...

	.end_amdgpu_metadata
